;; amdgpu-corpus repo=ROCm/rocm-examples kind=compiled arch=gfx906 opt=O3
	.amdgcn_target "amdgcn-amd-amdhsa--gfx906"
	.amdhsa_code_object_version 6
	.text
	.protected	_Z13divide_kernelPfPKfS1_i ; -- Begin function _Z13divide_kernelPfPKfS1_i
	.globl	_Z13divide_kernelPfPKfS1_i
	.p2align	8
	.type	_Z13divide_kernelPfPKfS1_i,@function
_Z13divide_kernelPfPKfS1_i:             ; @_Z13divide_kernelPfPKfS1_i
; %bb.0:
	s_load_dword s0, s[4:5], 0x2c
	s_waitcnt lgkmcnt(0)
	s_and_b32 s0, s0, 0xffff
	s_mul_i32 s6, s6, s0
	v_add_u32_e32 v0, s6, v0
	s_mov_b32 s0, 0x26000
	v_cmp_gt_i32_e32 vcc, s0, v0
	s_and_saveexec_b64 s[0:1], vcc
	s_cbranch_execz .LBB0_2
; %bb.1:
	s_load_dwordx4 s[0:3], s[4:5], 0x0
	s_load_dwordx2 s[6:7], s[4:5], 0x10
	v_ashrrev_i32_e32 v1, 31, v0
	v_lshlrev_b64 v[0:1], 2, v[0:1]
	s_waitcnt lgkmcnt(0)
	v_mov_b32_e32 v3, s3
	v_add_co_u32_e32 v2, vcc, s2, v0
	v_addc_co_u32_e32 v3, vcc, v3, v1, vcc
	global_load_dword v4, v[2:3], off
	v_mov_b32_e32 v3, s7
	v_add_co_u32_e32 v2, vcc, s6, v0
	v_addc_co_u32_e32 v3, vcc, v3, v1, vcc
	global_load_dword v2, v[2:3], off
	s_waitcnt vmcnt(0)
	v_sub_f32_e32 v3, v4, v2
	v_add_f32_e32 v2, v4, v2
	v_and_b32_e32 v4, 0x7fffffff, v2
	v_div_scale_f32 v5, s[2:3], v4, v4, v3
	v_div_scale_f32 v4, vcc, v3, v4, v3
	v_rcp_f32_e32 v6, v5
	v_fma_f32 v7, -v5, v6, 1.0
	v_fmac_f32_e32 v6, v7, v6
	v_mul_f32_e32 v7, v4, v6
	v_fma_f32 v8, -v5, v7, v4
	v_fmac_f32_e32 v7, v8, v6
	v_fma_f32 v4, -v5, v7, v4
	v_div_fmas_f32 v4, v4, v6, v7
	v_mov_b32_e32 v5, s1
	v_add_co_u32_e32 v0, vcc, s0, v0
	v_addc_co_u32_e32 v1, vcc, v5, v1, vcc
	v_div_fixup_f32 v2, v4, |v2|, v3
	v_add_f32_e32 v2, 1.0, v2
	global_store_dword v[0:1], v2, off
.LBB0_2:
	s_endpgm
	.section	.rodata,"a",@progbits
	.p2align	6, 0x0
	.amdhsa_kernel _Z13divide_kernelPfPKfS1_i
		.amdhsa_group_segment_fixed_size 0
		.amdhsa_private_segment_fixed_size 0
		.amdhsa_kernarg_size 288
		.amdhsa_user_sgpr_count 6
		.amdhsa_user_sgpr_private_segment_buffer 1
		.amdhsa_user_sgpr_dispatch_ptr 0
		.amdhsa_user_sgpr_queue_ptr 0
		.amdhsa_user_sgpr_kernarg_segment_ptr 1
		.amdhsa_user_sgpr_dispatch_id 0
		.amdhsa_user_sgpr_flat_scratch_init 0
		.amdhsa_user_sgpr_private_segment_size 0
		.amdhsa_uses_dynamic_stack 0
		.amdhsa_system_sgpr_private_segment_wavefront_offset 0
		.amdhsa_system_sgpr_workgroup_id_x 1
		.amdhsa_system_sgpr_workgroup_id_y 0
		.amdhsa_system_sgpr_workgroup_id_z 0
		.amdhsa_system_sgpr_workgroup_info 0
		.amdhsa_system_vgpr_workitem_id 0
		.amdhsa_next_free_vgpr 9
		.amdhsa_next_free_sgpr 8
		.amdhsa_reserve_vcc 1
		.amdhsa_reserve_flat_scratch 0
		.amdhsa_float_round_mode_32 0
		.amdhsa_float_round_mode_16_64 0
		.amdhsa_float_denorm_mode_32 3
		.amdhsa_float_denorm_mode_16_64 3
		.amdhsa_dx10_clamp 1
		.amdhsa_ieee_mode 1
		.amdhsa_fp16_overflow 0
		.amdhsa_exception_fp_ieee_invalid_op 0
		.amdhsa_exception_fp_denorm_src 0
		.amdhsa_exception_fp_ieee_div_zero 0
		.amdhsa_exception_fp_ieee_overflow 0
		.amdhsa_exception_fp_ieee_underflow 0
		.amdhsa_exception_fp_ieee_inexact 0
		.amdhsa_exception_int_div_zero 0
	.end_amdhsa_kernel
	.text
.Lfunc_end0:
	.size	_Z13divide_kernelPfPKfS1_i, .Lfunc_end0-_Z13divide_kernelPfPKfS1_i
                                        ; -- End function
	.set _Z13divide_kernelPfPKfS1_i.num_vgpr, 9
	.set _Z13divide_kernelPfPKfS1_i.num_agpr, 0
	.set _Z13divide_kernelPfPKfS1_i.numbered_sgpr, 8
	.set _Z13divide_kernelPfPKfS1_i.num_named_barrier, 0
	.set _Z13divide_kernelPfPKfS1_i.private_seg_size, 0
	.set _Z13divide_kernelPfPKfS1_i.uses_vcc, 1
	.set _Z13divide_kernelPfPKfS1_i.uses_flat_scratch, 0
	.set _Z13divide_kernelPfPKfS1_i.has_dyn_sized_stack, 0
	.set _Z13divide_kernelPfPKfS1_i.has_recursion, 0
	.set _Z13divide_kernelPfPKfS1_i.has_indirect_call, 0
	.section	.AMDGPU.csdata,"",@progbits
; Kernel info:
; codeLenInByte = 240
; TotalNumSgprs: 12
; NumVgprs: 9
; ScratchSize: 0
; MemoryBound: 0
; FloatMode: 240
; IeeeMode: 1
; LDSByteSize: 0 bytes/workgroup (compile time only)
; SGPRBlocks: 1
; VGPRBlocks: 2
; NumSGPRsForWavesPerEU: 12
; NumVGPRsForWavesPerEU: 9
; Occupancy: 10
; WaveLimiterHint : 0
; COMPUTE_PGM_RSRC2:SCRATCH_EN: 0
; COMPUTE_PGM_RSRC2:USER_SGPR: 6
; COMPUTE_PGM_RSRC2:TRAP_HANDLER: 0
; COMPUTE_PGM_RSRC2:TGID_X_EN: 1
; COMPUTE_PGM_RSRC2:TGID_Y_EN: 0
; COMPUTE_PGM_RSRC2:TGID_Z_EN: 0
; COMPUTE_PGM_RSRC2:TIDIG_COMP_CNT: 0
	.text
	.protected	_Z18looping_lds_kernelPfPKfS1_i ; -- Begin function _Z18looping_lds_kernelPfPKfS1_i
	.globl	_Z18looping_lds_kernelPfPKfS1_i
	.p2align	8
	.type	_Z18looping_lds_kernelPfPKfS1_i,@function
_Z18looping_lds_kernelPfPKfS1_i:        ; @_Z18looping_lds_kernelPfPKfS1_i
; %bb.0:
	s_load_dword s7, s[4:5], 0x2c
	s_load_dwordx4 s[0:3], s[4:5], 0x0
	s_load_dwordx2 s[8:9], s[4:5], 0x10
	v_mov_b32_e32 v2, 0
	v_lshlrev_b32_e32 v3, 2, v0
	s_waitcnt lgkmcnt(0)
	s_and_b32 s7, s7, 0xffff
	s_mul_i32 s6, s6, s7
	v_add_u32_e32 v1, s6, v0
	s_mov_b32 s6, 0x26000
	v_cmp_gt_u32_e32 vcc, s6, v1
	v_lshlrev_b64 v[1:2], 2, v[1:2]
	s_and_saveexec_b64 s[6:7], vcc
	s_cbranch_execz .LBB1_2
; %bb.1:
	v_mov_b32_e32 v5, s3
	v_add_co_u32_e32 v4, vcc, s2, v1
	v_addc_co_u32_e32 v5, vcc, v5, v2, vcc
	global_load_dword v4, v[4:5], off
	v_cvt_f32_u32_e32 v5, v0
	s_waitcnt vmcnt(0)
	v_add_f32_e32 v4, v4, v5
	ds_write_b32 v3, v4
.LBB1_2:
	s_or_b64 exec, exec, s[6:7]
	s_load_dword s4, s[4:5], 0x18
	s_waitcnt lgkmcnt(0)
	s_cmp_lt_i32 s4, 1
	s_cbranch_scc0 .LBB1_4
; %bb.3:
	ds_read_b32 v4, v3
	s_cbranch_execz .LBB1_5
	s_branch .LBB1_6
.LBB1_4:
                                        ; implicit-def: $vgpr4
.LBB1_5:                                ; =>This Inner Loop Header: Depth=1
	s_waitcnt lgkmcnt(0)
	v_and_b32_e32 v4, 0x3ff, v0
	v_xor_b32_e32 v4, 0x200, v4
	v_lshlrev_b32_e32 v4, 2, v4
	s_barrier
	ds_read_b32 v4, v4
	s_waitcnt lgkmcnt(0)
	s_barrier
	ds_read_b32 v5, v3
	s_add_i32 s4, s4, -1
	v_add_u32_e32 v0, 1, v0
	s_cmp_eq_u32 s4, 0
	s_waitcnt lgkmcnt(0)
	v_add_f32_e32 v4, v4, v5
	ds_write_b32 v3, v4
	s_cbranch_scc0 .LBB1_5
.LBB1_6:
	v_mov_b32_e32 v0, s9
	v_add_co_u32_e32 v5, vcc, s8, v1
	v_addc_co_u32_e32 v6, vcc, v0, v2, vcc
	global_load_dword v0, v[5:6], off
	v_mov_b32_e32 v3, s1
	s_waitcnt vmcnt(0) lgkmcnt(0)
	v_add_f32_e32 v4, v4, v0
	v_add_co_u32_e32 v0, vcc, s0, v1
	v_addc_co_u32_e32 v1, vcc, v3, v2, vcc
	global_store_dword v[0:1], v4, off
	s_endpgm
	.section	.rodata,"a",@progbits
	.p2align	6, 0x0
	.amdhsa_kernel _Z18looping_lds_kernelPfPKfS1_i
		.amdhsa_group_segment_fixed_size 4096
		.amdhsa_private_segment_fixed_size 0
		.amdhsa_kernarg_size 288
		.amdhsa_user_sgpr_count 6
		.amdhsa_user_sgpr_private_segment_buffer 1
		.amdhsa_user_sgpr_dispatch_ptr 0
		.amdhsa_user_sgpr_queue_ptr 0
		.amdhsa_user_sgpr_kernarg_segment_ptr 1
		.amdhsa_user_sgpr_dispatch_id 0
		.amdhsa_user_sgpr_flat_scratch_init 0
		.amdhsa_user_sgpr_private_segment_size 0
		.amdhsa_uses_dynamic_stack 0
		.amdhsa_system_sgpr_private_segment_wavefront_offset 0
		.amdhsa_system_sgpr_workgroup_id_x 1
		.amdhsa_system_sgpr_workgroup_id_y 0
		.amdhsa_system_sgpr_workgroup_id_z 0
		.amdhsa_system_sgpr_workgroup_info 0
		.amdhsa_system_vgpr_workitem_id 0
		.amdhsa_next_free_vgpr 29
		.amdhsa_next_free_sgpr 61
		.amdhsa_reserve_vcc 1
		.amdhsa_reserve_flat_scratch 0
		.amdhsa_float_round_mode_32 0
		.amdhsa_float_round_mode_16_64 0
		.amdhsa_float_denorm_mode_32 3
		.amdhsa_float_denorm_mode_16_64 3
		.amdhsa_dx10_clamp 1
		.amdhsa_ieee_mode 1
		.amdhsa_fp16_overflow 0
		.amdhsa_exception_fp_ieee_invalid_op 0
		.amdhsa_exception_fp_denorm_src 0
		.amdhsa_exception_fp_ieee_div_zero 0
		.amdhsa_exception_fp_ieee_overflow 0
		.amdhsa_exception_fp_ieee_underflow 0
		.amdhsa_exception_fp_ieee_inexact 0
		.amdhsa_exception_int_div_zero 0
	.end_amdhsa_kernel
	.text
.Lfunc_end1:
	.size	_Z18looping_lds_kernelPfPKfS1_i, .Lfunc_end1-_Z18looping_lds_kernelPfPKfS1_i
                                        ; -- End function
	.set _Z18looping_lds_kernelPfPKfS1_i.num_vgpr, 7
	.set _Z18looping_lds_kernelPfPKfS1_i.num_agpr, 0
	.set _Z18looping_lds_kernelPfPKfS1_i.numbered_sgpr, 10
	.set _Z18looping_lds_kernelPfPKfS1_i.num_named_barrier, 0
	.set _Z18looping_lds_kernelPfPKfS1_i.private_seg_size, 0
	.set _Z18looping_lds_kernelPfPKfS1_i.uses_vcc, 1
	.set _Z18looping_lds_kernelPfPKfS1_i.uses_flat_scratch, 0
	.set _Z18looping_lds_kernelPfPKfS1_i.has_dyn_sized_stack, 0
	.set _Z18looping_lds_kernelPfPKfS1_i.has_recursion, 0
	.set _Z18looping_lds_kernelPfPKfS1_i.has_indirect_call, 0
	.section	.AMDGPU.csdata,"",@progbits
; Kernel info:
; codeLenInByte = 296
; TotalNumSgprs: 14
; NumVgprs: 7
; ScratchSize: 0
; MemoryBound: 0
; FloatMode: 240
; IeeeMode: 1
; LDSByteSize: 4096 bytes/workgroup (compile time only)
; SGPRBlocks: 8
; VGPRBlocks: 7
; NumSGPRsForWavesPerEU: 65
; NumVGPRsForWavesPerEU: 29
; Occupancy: 8
; WaveLimiterHint : 0
; COMPUTE_PGM_RSRC2:SCRATCH_EN: 0
; COMPUTE_PGM_RSRC2:USER_SGPR: 6
; COMPUTE_PGM_RSRC2:TRAP_HANDLER: 0
; COMPUTE_PGM_RSRC2:TGID_X_EN: 1
; COMPUTE_PGM_RSRC2:TGID_Y_EN: 0
; COMPUTE_PGM_RSRC2:TGID_Z_EN: 0
; COMPUTE_PGM_RSRC2:TIDIG_COMP_CNT: 0
	.text
	.protected	_Z11fifo_kernelPfPKfS1_i ; -- Begin function _Z11fifo_kernelPfPKfS1_i
	.globl	_Z11fifo_kernelPfPKfS1_i
	.p2align	8
	.type	_Z11fifo_kernelPfPKfS1_i,@function
_Z11fifo_kernelPfPKfS1_i:               ; @_Z11fifo_kernelPfPKfS1_i
; %bb.0:
	s_load_dword s0, s[4:5], 0x18
	v_cvt_f32_u32_e32 v1, v0
	v_mov_b32_e32 v2, 0
	v_lshlrev_b32_e32 v0, 4, v0
	v_mov_b32_e32 v3, v2
	v_mov_b32_e32 v4, v2
	s_waitcnt lgkmcnt(0)
	s_cmp_lt_i32 s0, 1
	ds_write_b128 v0, v[1:4]
	ds_write_b128 v0, v[1:4] offset:8192
	s_waitcnt lgkmcnt(0)
	s_barrier
	s_cbranch_scc1 .LBB2_3
; %bb.1:
	v_mov_b32_e32 v1, 0
.LBB2_2:                                ; =>This Inner Loop Header: Depth=1
	ds_read_b128 v[3:6], v0
	ds_read_b128 v[7:10], v0 offset:128
	ds_read_b128 v[11:14], v0 offset:256
	;; [unrolled: 1-line block ×6, first 2 shown]
	s_waitcnt lgkmcnt(6)
	v_add_f32_e32 v31, v3, v4
	v_add_f32_e32 v32, v5, v6
	s_waitcnt lgkmcnt(5)
	v_add_f32_e32 v33, v7, v8
	v_add_f32_e32 v34, v9, v10
	ds_read_b128 v[3:6], v0 offset:896
	ds_read_b128 v[7:10], v0 offset:1024
	s_waitcnt lgkmcnt(6)
	v_add_f32_e32 v35, v11, v12
	v_add_f32_e32 v36, v13, v14
	s_waitcnt lgkmcnt(5)
	v_add_f32_e32 v15, v15, v16
	v_add_f32_e32 v16, v17, v18
	s_waitcnt lgkmcnt(4)
	v_add_f32_e32 v17, v19, v20
	s_waitcnt lgkmcnt(3)
	v_add_f32_e32 v19, v23, v24
	v_add_f32_e32 v20, v25, v26
	ds_read_b128 v[11:14], v0 offset:1152
	s_waitcnt lgkmcnt(2)
	v_add_f32_e32 v23, v3, v4
	v_add_f32_e32 v24, v5, v6
	ds_read_b128 v[3:6], v0 offset:1280
	;; [unrolled: 4-line block ×3, first 2 shown]
	v_add_f32_e32 v18, v21, v22
	v_add_f32_e32 v21, v27, v28
	s_waitcnt lgkmcnt(2)
	v_add_f32_e32 v11, v11, v12
	v_add_f32_e32 v12, v13, v14
	s_waitcnt lgkmcnt(1)
	;; [unrolled: 3-line block ×3, first 2 shown]
	v_add_f32_e32 v27, v7, v8
	v_add_f32_e32 v28, v9, v10
	ds_read_b128 v[3:6], v0 offset:1536
	ds_read_b128 v[7:10], v0 offset:1664
	v_add_f32_e32 v22, v29, v30
	v_add_f32_e32 v32, v2, v32
	;; [unrolled: 1-line block ×3, first 2 shown]
	s_waitcnt lgkmcnt(1)
	v_add_f32_e32 v29, v3, v4
	v_add_f32_e32 v30, v5, v6
	s_waitcnt lgkmcnt(0)
	v_add_f32_e32 v37, v7, v8
	v_add_f32_e32 v10, v9, v10
	ds_read_b128 v[2:5], v0 offset:1792
	ds_read_b128 v[6:9], v0 offset:1920
	v_add_f32_e32 v1, v1, v33
	v_add_f32_e32 v1, v1, v35
	;; [unrolled: 1-line block ×3, first 2 shown]
	s_waitcnt lgkmcnt(1)
	v_add_f32_e32 v2, v2, v3
	v_add_f32_e32 v3, v4, v5
	s_waitcnt lgkmcnt(0)
	v_add_f32_e32 v4, v6, v7
	v_add_f32_e32 v6, v32, v34
	;; [unrolled: 1-line block ×25, first 2 shown]
	s_add_i32 s0, s0, -1
	v_add_f32_e32 v1, v1, v2
	v_add_f32_e32 v2, v6, v3
	s_cmp_lg_u32 s0, 0
	v_add_f32_e32 v1, v1, v4
	v_add_f32_e32 v2, v2, v5
	s_barrier
	;;#ASMSTART
	v_add_f32 v1, v1, v2
	;;#ASMEND
	s_cbranch_scc1 .LBB2_2
.LBB2_3:
	s_endpgm
	.section	.rodata,"a",@progbits
	.p2align	6, 0x0
	.amdhsa_kernel _Z11fifo_kernelPfPKfS1_i
		.amdhsa_group_segment_fixed_size 16384
		.amdhsa_private_segment_fixed_size 0
		.amdhsa_kernarg_size 28
		.amdhsa_user_sgpr_count 6
		.amdhsa_user_sgpr_private_segment_buffer 1
		.amdhsa_user_sgpr_dispatch_ptr 0
		.amdhsa_user_sgpr_queue_ptr 0
		.amdhsa_user_sgpr_kernarg_segment_ptr 1
		.amdhsa_user_sgpr_dispatch_id 0
		.amdhsa_user_sgpr_flat_scratch_init 0
		.amdhsa_user_sgpr_private_segment_size 0
		.amdhsa_uses_dynamic_stack 0
		.amdhsa_system_sgpr_private_segment_wavefront_offset 0
		.amdhsa_system_sgpr_workgroup_id_x 1
		.amdhsa_system_sgpr_workgroup_id_y 0
		.amdhsa_system_sgpr_workgroup_id_z 0
		.amdhsa_system_sgpr_workgroup_info 0
		.amdhsa_system_vgpr_workitem_id 0
		.amdhsa_next_free_vgpr 38
		.amdhsa_next_free_sgpr 61
		.amdhsa_reserve_vcc 0
		.amdhsa_reserve_flat_scratch 0
		.amdhsa_float_round_mode_32 0
		.amdhsa_float_round_mode_16_64 0
		.amdhsa_float_denorm_mode_32 3
		.amdhsa_float_denorm_mode_16_64 3
		.amdhsa_dx10_clamp 1
		.amdhsa_ieee_mode 1
		.amdhsa_fp16_overflow 0
		.amdhsa_exception_fp_ieee_invalid_op 0
		.amdhsa_exception_fp_denorm_src 0
		.amdhsa_exception_fp_ieee_div_zero 0
		.amdhsa_exception_fp_ieee_overflow 0
		.amdhsa_exception_fp_ieee_underflow 0
		.amdhsa_exception_fp_ieee_inexact 0
		.amdhsa_exception_int_div_zero 0
	.end_amdhsa_kernel
	.text
.Lfunc_end2:
	.size	_Z11fifo_kernelPfPKfS1_i, .Lfunc_end2-_Z11fifo_kernelPfPKfS1_i
                                        ; -- End function
	.set _Z11fifo_kernelPfPKfS1_i.num_vgpr, 38
	.set _Z11fifo_kernelPfPKfS1_i.num_agpr, 0
	.set _Z11fifo_kernelPfPKfS1_i.numbered_sgpr, 6
	.set _Z11fifo_kernelPfPKfS1_i.num_named_barrier, 0
	.set _Z11fifo_kernelPfPKfS1_i.private_seg_size, 0
	.set _Z11fifo_kernelPfPKfS1_i.uses_vcc, 0
	.set _Z11fifo_kernelPfPKfS1_i.uses_flat_scratch, 0
	.set _Z11fifo_kernelPfPKfS1_i.has_dyn_sized_stack, 0
	.set _Z11fifo_kernelPfPKfS1_i.has_recursion, 0
	.set _Z11fifo_kernelPfPKfS1_i.has_indirect_call, 0
	.section	.AMDGPU.csdata,"",@progbits
; Kernel info:
; codeLenInByte = 540
; TotalNumSgprs: 10
; NumVgprs: 38
; ScratchSize: 0
; MemoryBound: 0
; FloatMode: 240
; IeeeMode: 1
; LDSByteSize: 16384 bytes/workgroup (compile time only)
; SGPRBlocks: 8
; VGPRBlocks: 9
; NumSGPRsForWavesPerEU: 65
; NumVGPRsForWavesPerEU: 38
; Occupancy: 6
; WaveLimiterHint : 0
; COMPUTE_PGM_RSRC2:SCRATCH_EN: 0
; COMPUTE_PGM_RSRC2:USER_SGPR: 6
; COMPUTE_PGM_RSRC2:TRAP_HANDLER: 0
; COMPUTE_PGM_RSRC2:TGID_X_EN: 1
; COMPUTE_PGM_RSRC2:TGID_Y_EN: 0
; COMPUTE_PGM_RSRC2:TGID_Z_EN: 0
; COMPUTE_PGM_RSRC2:TIDIG_COMP_CNT: 0
	.section	.AMDGPU.gpr_maximums,"",@progbits
	.set amdgpu.max_num_vgpr, 0
	.set amdgpu.max_num_agpr, 0
	.set amdgpu.max_num_sgpr, 0
	.section	.AMDGPU.csdata,"",@progbits
	.type	__hip_cuid_66a8b0dabebe8648,@object ; @__hip_cuid_66a8b0dabebe8648
	.section	.bss,"aw",@nobits
	.globl	__hip_cuid_66a8b0dabebe8648
__hip_cuid_66a8b0dabebe8648:
	.byte	0                               ; 0x0
	.size	__hip_cuid_66a8b0dabebe8648, 1

	.ident	"AMD clang version 22.0.0git (https://github.com/RadeonOpenCompute/llvm-project roc-7.2.4 26084 f58b06dce1f9c15707c5f808fd002e18c2accf7e)"
	.section	".note.GNU-stack","",@progbits
	.addrsig
	.addrsig_sym __hip_cuid_66a8b0dabebe8648
	.amdgpu_metadata
---
amdhsa.kernels:
  - .args:
      - .address_space:  global
        .offset:         0
        .size:           8
        .value_kind:     global_buffer
      - .address_space:  global
        .offset:         8
        .size:           8
        .value_kind:     global_buffer
      - .address_space:  global
        .offset:         16
        .size:           8
        .value_kind:     global_buffer
      - .offset:         24
        .size:           4
        .value_kind:     by_value
      - .offset:         32
        .size:           4
        .value_kind:     hidden_block_count_x
      - .offset:         36
        .size:           4
        .value_kind:     hidden_block_count_y
      - .offset:         40
        .size:           4
        .value_kind:     hidden_block_count_z
      - .offset:         44
        .size:           2
        .value_kind:     hidden_group_size_x
      - .offset:         46
        .size:           2
        .value_kind:     hidden_group_size_y
      - .offset:         48
        .size:           2
        .value_kind:     hidden_group_size_z
      - .offset:         50
        .size:           2
        .value_kind:     hidden_remainder_x
      - .offset:         52
        .size:           2
        .value_kind:     hidden_remainder_y
      - .offset:         54
        .size:           2
        .value_kind:     hidden_remainder_z
      - .offset:         72
        .size:           8
        .value_kind:     hidden_global_offset_x
      - .offset:         80
        .size:           8
        .value_kind:     hidden_global_offset_y
      - .offset:         88
        .size:           8
        .value_kind:     hidden_global_offset_z
      - .offset:         96
        .size:           2
        .value_kind:     hidden_grid_dims
    .group_segment_fixed_size: 0
    .kernarg_segment_align: 8
    .kernarg_segment_size: 288
    .language:       OpenCL C
    .language_version:
      - 2
      - 0
    .max_flat_workgroup_size: 1024
    .name:           _Z13divide_kernelPfPKfS1_i
    .private_segment_fixed_size: 0
    .sgpr_count:     12
    .sgpr_spill_count: 0
    .symbol:         _Z13divide_kernelPfPKfS1_i.kd
    .uniform_work_group_size: 1
    .uses_dynamic_stack: false
    .vgpr_count:     9
    .vgpr_spill_count: 0
    .wavefront_size: 64
  - .args:
      - .address_space:  global
        .offset:         0
        .size:           8
        .value_kind:     global_buffer
      - .address_space:  global
        .offset:         8
        .size:           8
        .value_kind:     global_buffer
      - .address_space:  global
        .offset:         16
        .size:           8
        .value_kind:     global_buffer
      - .offset:         24
        .size:           4
        .value_kind:     by_value
      - .offset:         32
        .size:           4
        .value_kind:     hidden_block_count_x
      - .offset:         36
        .size:           4
        .value_kind:     hidden_block_count_y
      - .offset:         40
        .size:           4
        .value_kind:     hidden_block_count_z
      - .offset:         44
        .size:           2
        .value_kind:     hidden_group_size_x
      - .offset:         46
        .size:           2
        .value_kind:     hidden_group_size_y
      - .offset:         48
        .size:           2
        .value_kind:     hidden_group_size_z
      - .offset:         50
        .size:           2
        .value_kind:     hidden_remainder_x
      - .offset:         52
        .size:           2
        .value_kind:     hidden_remainder_y
      - .offset:         54
        .size:           2
        .value_kind:     hidden_remainder_z
      - .offset:         72
        .size:           8
        .value_kind:     hidden_global_offset_x
      - .offset:         80
        .size:           8
        .value_kind:     hidden_global_offset_y
      - .offset:         88
        .size:           8
        .value_kind:     hidden_global_offset_z
      - .offset:         96
        .size:           2
        .value_kind:     hidden_grid_dims
    .group_segment_fixed_size: 4096
    .kernarg_segment_align: 8
    .kernarg_segment_size: 288
    .language:       OpenCL C
    .language_version:
      - 2
      - 0
    .max_flat_workgroup_size: 1024
    .name:           _Z18looping_lds_kernelPfPKfS1_i
    .private_segment_fixed_size: 0
    .sgpr_count:     14
    .sgpr_spill_count: 0
    .symbol:         _Z18looping_lds_kernelPfPKfS1_i.kd
    .uniform_work_group_size: 1
    .uses_dynamic_stack: false
    .vgpr_count:     7
    .vgpr_spill_count: 0
    .wavefront_size: 64
  - .args:
      - .address_space:  global
        .offset:         0
        .size:           8
        .value_kind:     global_buffer
      - .address_space:  global
        .offset:         8
        .size:           8
        .value_kind:     global_buffer
      - .address_space:  global
        .offset:         16
        .size:           8
        .value_kind:     global_buffer
      - .offset:         24
        .size:           4
        .value_kind:     by_value
    .group_segment_fixed_size: 16384
    .kernarg_segment_align: 8
    .kernarg_segment_size: 28
    .language:       OpenCL C
    .language_version:
      - 2
      - 0
    .max_flat_workgroup_size: 1024
    .name:           _Z11fifo_kernelPfPKfS1_i
    .private_segment_fixed_size: 0
    .sgpr_count:     10
    .sgpr_spill_count: 0
    .symbol:         _Z11fifo_kernelPfPKfS1_i.kd
    .uniform_work_group_size: 1
    .uses_dynamic_stack: false
    .vgpr_count:     38
    .vgpr_spill_count: 0
    .wavefront_size: 64
amdhsa.target:   amdgcn-amd-amdhsa--gfx906
amdhsa.version:
  - 1
  - 2
...

	.end_amdgpu_metadata
